;; amdgpu-corpus repo=GPUOpen-LibrariesAndSDKs/Orochi kind=compiled arch=gfx1250 opt=O3
	.amdgcn_target "amdgcn-amd-amdhsa--gfx1250"
	.amdhsa_code_object_version 6
	.text
	.protected	testKernel              ; -- Begin function testKernel
	.globl	testKernel
	.p2align	8
	.type	testKernel,@function
testKernel:                             ; @testKernel
; %bb.0:
	s_mov_b64 s[10:11], s[6:7]
	s_load_b64 s[6:7], s[4:5], 0x0
	v_mov_b32_e32 v31, v0
	s_get_pc_i64 s[12:13]
	s_add_nc_u64 s[12:13], s[12:13], _Z7setInfoPi@rel64+4
	s_add_nc_u64 s[8:9], s[4:5], 8
	s_wait_xcnt 0x0
	s_mov_b64 s[4:5], s[0:1]
	s_mov_b32 s32, 0
	s_wait_kmcnt 0x0
	v_dual_mov_b32 v0, s6 :: v_dual_mov_b32 v1, s7
	s_mov_b64 s[6:7], s[2:3]
	s_swap_pc_i64 s[30:31], s[12:13]
	s_endpgm
	.section	.rodata,"a",@progbits
	.p2align	6, 0x0
	.amdhsa_kernel testKernel
		.amdhsa_group_segment_fixed_size 0
		.amdhsa_private_segment_fixed_size 0
		.amdhsa_kernarg_size 264
		.amdhsa_user_sgpr_count 8
		.amdhsa_user_sgpr_dispatch_ptr 1
		.amdhsa_user_sgpr_queue_ptr 1
		.amdhsa_user_sgpr_kernarg_segment_ptr 1
		.amdhsa_user_sgpr_dispatch_id 1
		.amdhsa_user_sgpr_kernarg_preload_length 0
		.amdhsa_user_sgpr_kernarg_preload_offset 0
		.amdhsa_user_sgpr_private_segment_size 0
		.amdhsa_wavefront_size32 1
		.amdhsa_uses_dynamic_stack 1
		.amdhsa_enable_private_segment 1
		.amdhsa_system_sgpr_workgroup_id_x 1
		.amdhsa_system_sgpr_workgroup_id_y 1
		.amdhsa_system_sgpr_workgroup_id_z 1
		.amdhsa_system_sgpr_workgroup_info 0
		.amdhsa_system_vgpr_workitem_id 2
		.amdhsa_next_free_vgpr max(totalnumvgprs(testKernel.num_agpr, testKernel.num_vgpr), 1, 0)
		.amdhsa_next_free_sgpr max(testKernel.numbered_sgpr+2, 1, 0)-2
		.amdhsa_named_barrier_count (((((alignto(testKernel.num_named_barrier, 4)/4)<<14)&~4080)|16)&114688)>>14
		.amdhsa_reserve_vcc 1
		.amdhsa_float_round_mode_32 0
		.amdhsa_float_round_mode_16_64 0
		.amdhsa_float_denorm_mode_32 3
		.amdhsa_float_denorm_mode_16_64 3
		.amdhsa_fp16_overflow 0
		.amdhsa_memory_ordered 1
		.amdhsa_forward_progress 1
		.amdhsa_inst_pref_size 1
		.amdhsa_round_robin_scheduling 0
		.amdhsa_exception_fp_ieee_invalid_op 0
		.amdhsa_exception_fp_denorm_src 0
		.amdhsa_exception_fp_ieee_div_zero 0
		.amdhsa_exception_fp_ieee_overflow 0
		.amdhsa_exception_fp_ieee_underflow 0
		.amdhsa_exception_fp_ieee_inexact 0
		.amdhsa_exception_int_div_zero 0
	.end_amdhsa_kernel
	.text
.Lfunc_end0:
	.size	testKernel, .Lfunc_end0-testKernel
                                        ; -- End function
	.set testKernel.num_vgpr, max(32, amdgpu.max_num_vgpr)
	.set testKernel.num_agpr, max(0, amdgpu.max_num_agpr)
	.set testKernel.numbered_sgpr, max(33, amdgpu.max_num_sgpr)
	.set testKernel.num_named_barrier, max(0, amdgpu.max_num_named_barrier)
	.set testKernel.private_seg_size, 0
	.set testKernel.uses_vcc, 1
	.set testKernel.uses_flat_scratch, 1
	.set testKernel.has_dyn_sized_stack, 1
	.set testKernel.has_recursion, 1
	.set testKernel.has_indirect_call, 1
	.section	.AMDGPU.csdata,"",@progbits
; Kernel info:
; codeLenInByte = 72
; TotalNumSgprs: testKernel.numbered_sgpr+2
; NumVgprs: testKernel.num_vgpr
; ScratchSize: 0
; MemoryBound: 0
; FloatMode: 240
; IeeeMode: 1
; LDSByteSize: 0 bytes/workgroup (compile time only)
; SGPRBlocks: 0
; VGPRBlocks: (alignto(max(max(totalnumvgprs(testKernel.num_agpr, testKernel.num_vgpr), 1, 0), 1), 16)/16)-1
; NumSGPRsForWavesPerEU: max(testKernel.numbered_sgpr+2, 1, 0)
; NumVGPRsForWavesPerEU: max(totalnumvgprs(testKernel.num_agpr, testKernel.num_vgpr), 1, 0)
; NamedBarCnt: alignto(testKernel.num_named_barrier, 4)/4
; Occupancy: occupancy(16, 16, 1024, 11, 16, max(testKernel.numbered_sgpr+extrasgprs(testKernel.uses_vcc, testKernel.uses_flat_scratch, 1), 1, 0), max(totalnumvgprs(testKernel.num_agpr, testKernel.num_vgpr), 1, 0))
; WaveLimiterHint : 0
; COMPUTE_PGM_RSRC2:SCRATCH_EN: 1
; COMPUTE_PGM_RSRC2:USER_SGPR: 8
; COMPUTE_PGM_RSRC2:TRAP_HANDLER: 0
; COMPUTE_PGM_RSRC2:TGID_X_EN: 1
; COMPUTE_PGM_RSRC2:TGID_Y_EN: 1
; COMPUTE_PGM_RSRC2:TGID_Z_EN: 1
; COMPUTE_PGM_RSRC2:TIDIG_COMP_CNT: 2
	.text
	.p2alignl 7, 3214868480
	.fill 96, 4, 3214868480
	.section	.AMDGPU.gpr_maximums,"",@progbits
	.set amdgpu.max_num_vgpr, 0
	.set amdgpu.max_num_agpr, 0
	.set amdgpu.max_num_sgpr, 0
	.text
	.type	__hip_cuid_cea798741de07b7a,@object ; @__hip_cuid_cea798741de07b7a
	.section	.bss,"aw",@nobits
	.globl	__hip_cuid_cea798741de07b7a
__hip_cuid_cea798741de07b7a:
	.byte	0                               ; 0x0
	.size	__hip_cuid_cea798741de07b7a, 1

	.hidden	_Z7setInfoPi
	.ident	"AMD clang version 22.0.0git (https://github.com/RadeonOpenCompute/llvm-project roc-7.2.4 26084 f58b06dce1f9c15707c5f808fd002e18c2accf7e)"
	.section	".note.GNU-stack","",@progbits
	.addrsig
	.addrsig_sym __hip_cuid_cea798741de07b7a
	.amdgpu_metadata
---
amdhsa.kernels:
  - .args:
      - .address_space:  global
        .offset:         0
        .size:           8
        .value_kind:     global_buffer
      - .offset:         8
        .size:           4
        .value_kind:     hidden_block_count_x
      - .offset:         12
        .size:           4
        .value_kind:     hidden_block_count_y
      - .offset:         16
        .size:           4
        .value_kind:     hidden_block_count_z
      - .offset:         20
        .size:           2
        .value_kind:     hidden_group_size_x
      - .offset:         22
        .size:           2
        .value_kind:     hidden_group_size_y
      - .offset:         24
        .size:           2
        .value_kind:     hidden_group_size_z
      - .offset:         26
        .size:           2
        .value_kind:     hidden_remainder_x
      - .offset:         28
        .size:           2
        .value_kind:     hidden_remainder_y
      - .offset:         30
        .size:           2
        .value_kind:     hidden_remainder_z
      - .offset:         48
        .size:           8
        .value_kind:     hidden_global_offset_x
      - .offset:         56
        .size:           8
        .value_kind:     hidden_global_offset_y
      - .offset:         64
        .size:           8
        .value_kind:     hidden_global_offset_z
      - .offset:         72
        .size:           2
        .value_kind:     hidden_grid_dims
      - .offset:         88
        .size:           8
        .value_kind:     hidden_hostcall_buffer
      - .offset:         96
        .size:           8
        .value_kind:     hidden_multigrid_sync_arg
      - .offset:         104
        .size:           8
        .value_kind:     hidden_heap_v1
      - .offset:         112
        .size:           8
        .value_kind:     hidden_default_queue
      - .offset:         120
        .size:           8
        .value_kind:     hidden_completion_action
      - .offset:         208
        .size:           8
        .value_kind:     hidden_queue_ptr
    .group_segment_fixed_size: 0
    .kernarg_segment_align: 8
    .kernarg_segment_size: 264
    .language:       OpenCL C
    .language_version:
      - 2
      - 0
    .max_flat_workgroup_size: 1024
    .name:           testKernel
    .private_segment_fixed_size: 0
    .sgpr_count:     35
    .sgpr_spill_count: 0
    .symbol:         testKernel.kd
    .uniform_work_group_size: 1
    .uses_dynamic_stack: true
    .vgpr_count:     32
    .vgpr_spill_count: 0
    .wavefront_size: 32
amdhsa.target:   amdgcn-amd-amdhsa--gfx1250
amdhsa.version:
  - 1
  - 2
...

	.end_amdgpu_metadata
